;; amdgpu-corpus repo=pytorch/pytorch kind=compiled arch=gfx1250 opt=O3
	.amdgcn_target "amdgcn-amd-amdhsa--gfx1250"
	.amdhsa_code_object_version 6
	.section	.text._ZL19compute_cuda_kernelIiEvPKT_PKlPS0_ll,"axG",@progbits,_ZL19compute_cuda_kernelIiEvPKT_PKlPS0_ll,comdat
	.globl	_ZL19compute_cuda_kernelIiEvPKT_PKlPS0_ll ; -- Begin function _ZL19compute_cuda_kernelIiEvPKT_PKlPS0_ll
	.p2align	8
	.type	_ZL19compute_cuda_kernelIiEvPKT_PKlPS0_ll,@function
_ZL19compute_cuda_kernelIiEvPKT_PKlPS0_ll: ; @_ZL19compute_cuda_kernelIiEvPKT_PKlPS0_ll
; %bb.0:
	s_load_b256 s[4:11], s[0:1], 0x0
	s_wait_kmcnt 0x0
	s_lshl_b64 s[2:3], s[10:11], 3
	s_delay_alu instid0(SALU_CYCLE_1) | instskip(NEXT) | instid1(SALU_CYCLE_1)
	s_add_nc_u64 s[2:3], s[6:7], s[2:3]
	s_add_nc_u64 s[2:3], s[2:3], -8
	s_load_b64 s[12:13], s[0:1], 0x20
	s_load_b64 s[14:15], s[2:3], 0x0
	s_wait_kmcnt 0x0
	s_cmp_eq_u64 s[12:13], s[14:15]
	s_cbranch_scc0 .LBB0_17
; %bb.1:
	s_mov_b32 s12, 0
.LBB0_2:
	s_load_b32 s2, s[0:1], 0x34
	s_bfe_u32 s3, ttmp6, 0x4000c
	s_and_b32 s13, ttmp6, 15
	s_add_co_i32 s3, s3, 1
	s_getreg_b32 s14, hwreg(HW_REG_IB_STS2, 6, 4)
	s_mul_i32 s3, ttmp9, s3
	v_mov_b32_e32 v1, 0
	s_add_co_i32 s13, s13, s3
	s_wait_kmcnt 0x0
	s_and_b32 s2, s2, 0xffff
	s_cmp_eq_u32 s14, 0
	s_cselect_b32 s3, ttmp9, s13
	s_mov_b32 s13, exec_lo
	v_mad_nc_u64_u32 v[4:5], s2, s3, v[0:1]
	s_mov_b32 s3, 0
	s_delay_alu instid0(VALU_DEP_1) | instskip(NEXT) | instid1(VALU_DEP_1)
	v_lshrrev_b64 v[2:3], 5, v[4:5]
	v_ashrrev_i32_e32 v3, 31, v2
	s_delay_alu instid0(VALU_DEP_1)
	v_cmpx_gt_i64_e64 s[10:11], v[2:3]
	s_cbranch_execz .LBB0_12
; %bb.3:
	s_add_nc_u64 s[0:1], s[0:1], 40
	v_dual_mov_b32 v5, v1 :: v_dual_bitop2_b32 v4, 31, v4 bitop3:0x40
	s_load_b32 s0, s[0:1], 0x0
                                        ; implicit-def: $sgpr1
                                        ; implicit-def: $sgpr15
                                        ; implicit-def: $sgpr14
	s_wait_kmcnt 0x0
	s_mul_i32 s0, s0, s2
	s_delay_alu instid0(SALU_CYCLE_1)
	s_lshr_b32 s2, s0, 5
	s_mov_b32 s0, s3
.LBB0_4:                                ; =>This Loop Header: Depth=1
                                        ;     Child Loop BB0_7 Depth 2
	v_lshl_add_u64 v[6:7], v[2:3], 2, s[4:5]
	s_or_b32 s14, s14, exec_lo
	s_or_b32 s15, s15, exec_lo
	s_mov_b32 s16, exec_lo
	global_load_b32 v0, v[6:7], off
	s_wait_loadcnt 0x0
	s_wait_xcnt 0x0
	v_cmpx_lt_i32_e32 -1, v0
	s_cbranch_execz .LBB0_9
; %bb.5:                                ;   in Loop: Header=BB0_4 Depth=1
	v_lshl_add_u64 v[6:7], v[2:3], 3, s[6:7]
	s_mov_b32 s17, exec_lo
	global_load_b64 v[6:7], v[6:7], off
	s_wait_loadcnt 0x0
	v_add_nc_u64_e32 v[8:9], v[6:7], v[4:5]
	s_delay_alu instid0(VALU_DEP_1) | instskip(SKIP_1) | instid1(VALU_DEP_1)
	v_sub_nc_u64_e32 v[8:9], v[8:9], v[0:1]
	s_wait_xcnt 0x0
	v_cmpx_lt_i64_e64 v[8:9], v[6:7]
	s_cbranch_execz .LBB0_8
; %bb.6:                                ;   in Loop: Header=BB0_4 Depth=1
	v_lshl_add_u64 v[10:11], v[8:9], 2, s[8:9]
	s_mov_b32 s18, 0
.LBB0_7:                                ;   Parent Loop BB0_4 Depth=1
                                        ; =>  This Inner Loop Header: Depth=2
	v_add_nc_u64_e32 v[8:9], 32, v[8:9]
	global_store_b32 v[10:11], v2, off
	s_wait_xcnt 0x0
	v_add_nc_u64_e32 v[10:11], 0x80, v[10:11]
	v_cmp_ge_i64_e32 vcc_lo, v[8:9], v[6:7]
	s_or_b32 s18, vcc_lo, s18
	s_delay_alu instid0(SALU_CYCLE_1)
	s_and_not1_b32 exec_lo, exec_lo, s18
	s_cbranch_execnz .LBB0_7
.LBB0_8:                                ;   in Loop: Header=BB0_4 Depth=1
	s_or_b32 exec_lo, exec_lo, s17
	v_add_nc_u64_e32 v[2:3], s[2:3], v[2:3]
	s_and_not1_b32 s15, s15, exec_lo
	s_and_not1_b32 s14, s14, exec_lo
	s_delay_alu instid0(VALU_DEP_1) | instskip(SKIP_1) | instid1(SALU_CYCLE_1)
	v_cmp_le_i64_e32 vcc_lo, s[10:11], v[2:3]
	s_and_b32 s17, vcc_lo, exec_lo
	s_or_b32 s15, s15, s17
.LBB0_9:                                ;   in Loop: Header=BB0_4 Depth=1
	s_or_b32 exec_lo, exec_lo, s16
	s_delay_alu instid0(SALU_CYCLE_1) | instskip(NEXT) | instid1(SALU_CYCLE_1)
	s_and_b32 s16, exec_lo, s15
	s_or_b32 s0, s16, s0
	s_and_not1_b32 s1, s1, exec_lo
	s_and_b32 s16, s14, exec_lo
	s_delay_alu instid0(SALU_CYCLE_1)
	s_or_b32 s1, s1, s16
	s_and_not1_b32 exec_lo, exec_lo, s0
	s_cbranch_execnz .LBB0_4
; %bb.10:
	s_or_b32 exec_lo, exec_lo, s0
	s_mov_b32 s0, s12
	s_and_saveexec_b32 s2, s1
	s_delay_alu instid0(SALU_CYCLE_1)
	s_xor_b32 s1, exec_lo, s2
	s_cbranch_execnz .LBB0_16
.LBB0_11:
	s_or_b32 exec_lo, exec_lo, s1
	s_delay_alu instid0(SALU_CYCLE_1) | instskip(SKIP_1) | instid1(SALU_CYCLE_1)
	s_and_not1_b32 s1, s12, exec_lo
	s_and_b32 s0, s0, exec_lo
	s_or_b32 s12, s1, s0
.LBB0_12:
	s_or_b32 exec_lo, exec_lo, s13
.LBB0_13:
	s_and_saveexec_b32 s0, s12
	s_cbranch_execnz .LBB0_15
; %bb.14:
	s_endpgm
.LBB0_15:
	; divergent unreachable
	s_endpgm
.LBB0_16:
	s_or_b32 s0, s12, exec_lo
	s_trap 2
	s_branch .LBB0_11
.LBB0_17:
	s_mov_b32 s12, -1
	s_trap 2
	s_cbranch_execz .LBB0_2
	s_branch .LBB0_13
	.section	.rodata,"a",@progbits
	.p2align	6, 0x0
	.amdhsa_kernel _ZL19compute_cuda_kernelIiEvPKT_PKlPS0_ll
		.amdhsa_group_segment_fixed_size 0
		.amdhsa_private_segment_fixed_size 0
		.amdhsa_kernarg_size 296
		.amdhsa_user_sgpr_count 2
		.amdhsa_user_sgpr_dispatch_ptr 0
		.amdhsa_user_sgpr_queue_ptr 0
		.amdhsa_user_sgpr_kernarg_segment_ptr 1
		.amdhsa_user_sgpr_dispatch_id 0
		.amdhsa_user_sgpr_kernarg_preload_length 0
		.amdhsa_user_sgpr_kernarg_preload_offset 0
		.amdhsa_user_sgpr_private_segment_size 0
		.amdhsa_wavefront_size32 1
		.amdhsa_uses_dynamic_stack 0
		.amdhsa_enable_private_segment 0
		.amdhsa_system_sgpr_workgroup_id_x 1
		.amdhsa_system_sgpr_workgroup_id_y 0
		.amdhsa_system_sgpr_workgroup_id_z 0
		.amdhsa_system_sgpr_workgroup_info 0
		.amdhsa_system_vgpr_workitem_id 0
		.amdhsa_next_free_vgpr 12
		.amdhsa_next_free_sgpr 19
		.amdhsa_named_barrier_count 0
		.amdhsa_reserve_vcc 1
		.amdhsa_float_round_mode_32 0
		.amdhsa_float_round_mode_16_64 0
		.amdhsa_float_denorm_mode_32 3
		.amdhsa_float_denorm_mode_16_64 3
		.amdhsa_fp16_overflow 0
		.amdhsa_memory_ordered 1
		.amdhsa_forward_progress 1
		.amdhsa_inst_pref_size 5
		.amdhsa_round_robin_scheduling 0
		.amdhsa_exception_fp_ieee_invalid_op 0
		.amdhsa_exception_fp_denorm_src 0
		.amdhsa_exception_fp_ieee_div_zero 0
		.amdhsa_exception_fp_ieee_overflow 0
		.amdhsa_exception_fp_ieee_underflow 0
		.amdhsa_exception_fp_ieee_inexact 0
		.amdhsa_exception_int_div_zero 0
	.end_amdhsa_kernel
	.section	.text._ZL19compute_cuda_kernelIiEvPKT_PKlPS0_ll,"axG",@progbits,_ZL19compute_cuda_kernelIiEvPKT_PKlPS0_ll,comdat
.Lfunc_end0:
	.size	_ZL19compute_cuda_kernelIiEvPKT_PKlPS0_ll, .Lfunc_end0-_ZL19compute_cuda_kernelIiEvPKT_PKlPS0_ll
                                        ; -- End function
	.set _ZL19compute_cuda_kernelIiEvPKT_PKlPS0_ll.num_vgpr, 12
	.set _ZL19compute_cuda_kernelIiEvPKT_PKlPS0_ll.num_agpr, 0
	.set _ZL19compute_cuda_kernelIiEvPKT_PKlPS0_ll.numbered_sgpr, 19
	.set _ZL19compute_cuda_kernelIiEvPKT_PKlPS0_ll.num_named_barrier, 0
	.set _ZL19compute_cuda_kernelIiEvPKT_PKlPS0_ll.private_seg_size, 0
	.set _ZL19compute_cuda_kernelIiEvPKT_PKlPS0_ll.uses_vcc, 1
	.set _ZL19compute_cuda_kernelIiEvPKT_PKlPS0_ll.uses_flat_scratch, 0
	.set _ZL19compute_cuda_kernelIiEvPKT_PKlPS0_ll.has_dyn_sized_stack, 0
	.set _ZL19compute_cuda_kernelIiEvPKT_PKlPS0_ll.has_recursion, 0
	.set _ZL19compute_cuda_kernelIiEvPKT_PKlPS0_ll.has_indirect_call, 0
	.section	.AMDGPU.csdata,"",@progbits
; Kernel info:
; codeLenInByte = 540
; TotalNumSgprs: 21
; NumVgprs: 12
; ScratchSize: 0
; MemoryBound: 0
; FloatMode: 240
; IeeeMode: 1
; LDSByteSize: 0 bytes/workgroup (compile time only)
; SGPRBlocks: 0
; VGPRBlocks: 0
; NumSGPRsForWavesPerEU: 21
; NumVGPRsForWavesPerEU: 12
; NamedBarCnt: 0
; Occupancy: 16
; WaveLimiterHint : 0
; COMPUTE_PGM_RSRC2:SCRATCH_EN: 0
; COMPUTE_PGM_RSRC2:USER_SGPR: 2
; COMPUTE_PGM_RSRC2:TRAP_HANDLER: 0
; COMPUTE_PGM_RSRC2:TGID_X_EN: 1
; COMPUTE_PGM_RSRC2:TGID_Y_EN: 0
; COMPUTE_PGM_RSRC2:TGID_Z_EN: 0
; COMPUTE_PGM_RSRC2:TIDIG_COMP_CNT: 0
	.section	.text._ZL19compute_cuda_kernelIlEvPKT_PKlPS0_ll,"axG",@progbits,_ZL19compute_cuda_kernelIlEvPKT_PKlPS0_ll,comdat
	.globl	_ZL19compute_cuda_kernelIlEvPKT_PKlPS0_ll ; -- Begin function _ZL19compute_cuda_kernelIlEvPKT_PKlPS0_ll
	.p2align	8
	.type	_ZL19compute_cuda_kernelIlEvPKT_PKlPS0_ll,@function
_ZL19compute_cuda_kernelIlEvPKT_PKlPS0_ll: ; @_ZL19compute_cuda_kernelIlEvPKT_PKlPS0_ll
; %bb.0:
	s_load_b256 s[4:11], s[0:1], 0x0
	s_wait_kmcnt 0x0
	s_lshl_b64 s[2:3], s[10:11], 3
	s_delay_alu instid0(SALU_CYCLE_1) | instskip(NEXT) | instid1(SALU_CYCLE_1)
	s_add_nc_u64 s[2:3], s[6:7], s[2:3]
	s_add_nc_u64 s[2:3], s[2:3], -8
	s_load_b64 s[12:13], s[0:1], 0x20
	s_load_b64 s[14:15], s[2:3], 0x0
	s_wait_kmcnt 0x0
	s_cmp_eq_u64 s[12:13], s[14:15]
	s_cbranch_scc0 .LBB1_17
; %bb.1:
	s_mov_b32 s12, 0
.LBB1_2:
	s_load_b32 s2, s[0:1], 0x34
	s_bfe_u32 s3, ttmp6, 0x4000c
	s_and_b32 s13, ttmp6, 15
	s_add_co_i32 s3, s3, 1
	s_getreg_b32 s14, hwreg(HW_REG_IB_STS2, 6, 4)
	s_mul_i32 s3, ttmp9, s3
	v_mov_b32_e32 v1, 0
	s_add_co_i32 s13, s13, s3
	s_wait_kmcnt 0x0
	s_and_b32 s2, s2, 0xffff
	s_cmp_eq_u32 s14, 0
	s_cselect_b32 s3, ttmp9, s13
	s_mov_b32 s13, exec_lo
	v_mad_nc_u64_u32 v[4:5], s2, s3, v[0:1]
	s_mov_b32 s3, 0
	s_delay_alu instid0(VALU_DEP_1) | instskip(NEXT) | instid1(VALU_DEP_1)
	v_lshrrev_b64 v[2:3], 5, v[4:5]
	v_ashrrev_i32_e32 v3, 31, v2
	s_delay_alu instid0(VALU_DEP_1)
	v_cmpx_gt_i64_e64 s[10:11], v[2:3]
	s_cbranch_execz .LBB1_12
; %bb.3:
	s_add_nc_u64 s[0:1], s[0:1], 40
	v_and_b32_e32 v0, 31, v4
	s_load_b32 s0, s[0:1], 0x0
                                        ; implicit-def: $sgpr1
                                        ; implicit-def: $sgpr15
                                        ; implicit-def: $sgpr14
	s_wait_kmcnt 0x0
	s_mul_i32 s0, s0, s2
	s_delay_alu instid0(SALU_CYCLE_1)
	s_lshr_b32 s2, s0, 5
	s_mov_b32 s0, s3
.LBB1_4:                                ; =>This Loop Header: Depth=1
                                        ;     Child Loop BB1_7 Depth 2
	v_lshl_add_u64 v[4:5], v[2:3], 3, s[4:5]
	s_or_b32 s14, s14, exec_lo
	s_or_b32 s15, s15, exec_lo
	s_mov_b32 s16, exec_lo
	global_load_b64 v[6:7], v[4:5], off
	s_wait_loadcnt 0x0
	s_wait_xcnt 0x0
	v_cmpx_lt_i64_e32 -1, v[6:7]
	s_cbranch_execz .LBB1_9
; %bb.5:                                ;   in Loop: Header=BB1_4 Depth=1
	v_lshl_add_u64 v[4:5], v[2:3], 3, s[6:7]
	s_mov_b32 s17, exec_lo
	global_load_b64 v[4:5], v[4:5], off
	s_wait_loadcnt 0x0
	v_add_nc_u64_e32 v[8:9], v[4:5], v[0:1]
	s_delay_alu instid0(VALU_DEP_1) | instskip(SKIP_1) | instid1(VALU_DEP_1)
	v_sub_nc_u64_e32 v[6:7], v[8:9], v[6:7]
	s_wait_xcnt 0x0
	v_cmpx_lt_i64_e64 v[6:7], v[4:5]
	s_cbranch_execz .LBB1_8
; %bb.6:                                ;   in Loop: Header=BB1_4 Depth=1
	v_lshl_add_u64 v[8:9], v[6:7], 3, s[8:9]
	s_mov_b32 s18, 0
.LBB1_7:                                ;   Parent Loop BB1_4 Depth=1
                                        ; =>  This Inner Loop Header: Depth=2
	v_add_nc_u64_e32 v[6:7], 32, v[6:7]
	global_store_b64 v[8:9], v[2:3], off
	s_wait_xcnt 0x0
	v_add_nc_u64_e32 v[8:9], 0x100, v[8:9]
	v_cmp_ge_i64_e32 vcc_lo, v[6:7], v[4:5]
	s_or_b32 s18, vcc_lo, s18
	s_delay_alu instid0(SALU_CYCLE_1)
	s_and_not1_b32 exec_lo, exec_lo, s18
	s_cbranch_execnz .LBB1_7
.LBB1_8:                                ;   in Loop: Header=BB1_4 Depth=1
	s_or_b32 exec_lo, exec_lo, s17
	v_add_nc_u64_e32 v[2:3], s[2:3], v[2:3]
	s_and_not1_b32 s15, s15, exec_lo
	s_and_not1_b32 s14, s14, exec_lo
	s_delay_alu instid0(VALU_DEP_1) | instskip(SKIP_1) | instid1(SALU_CYCLE_1)
	v_cmp_le_i64_e32 vcc_lo, s[10:11], v[2:3]
	s_and_b32 s17, vcc_lo, exec_lo
	s_or_b32 s15, s15, s17
.LBB1_9:                                ;   in Loop: Header=BB1_4 Depth=1
	s_or_b32 exec_lo, exec_lo, s16
	s_delay_alu instid0(SALU_CYCLE_1) | instskip(NEXT) | instid1(SALU_CYCLE_1)
	s_and_b32 s16, exec_lo, s15
	s_or_b32 s0, s16, s0
	s_and_not1_b32 s1, s1, exec_lo
	s_and_b32 s16, s14, exec_lo
	s_delay_alu instid0(SALU_CYCLE_1)
	s_or_b32 s1, s1, s16
	s_and_not1_b32 exec_lo, exec_lo, s0
	s_cbranch_execnz .LBB1_4
; %bb.10:
	s_or_b32 exec_lo, exec_lo, s0
	s_mov_b32 s0, s12
	s_and_saveexec_b32 s2, s1
	s_delay_alu instid0(SALU_CYCLE_1)
	s_xor_b32 s1, exec_lo, s2
	s_cbranch_execnz .LBB1_16
.LBB1_11:
	s_or_b32 exec_lo, exec_lo, s1
	s_delay_alu instid0(SALU_CYCLE_1) | instskip(SKIP_1) | instid1(SALU_CYCLE_1)
	s_and_not1_b32 s1, s12, exec_lo
	s_and_b32 s0, s0, exec_lo
	s_or_b32 s12, s1, s0
.LBB1_12:
	s_or_b32 exec_lo, exec_lo, s13
.LBB1_13:
	s_and_saveexec_b32 s0, s12
	s_cbranch_execnz .LBB1_15
; %bb.14:
	s_endpgm
.LBB1_15:
	; divergent unreachable
	s_endpgm
.LBB1_16:
	s_or_b32 s0, s12, exec_lo
	s_trap 2
	s_branch .LBB1_11
.LBB1_17:
	s_mov_b32 s12, -1
	s_trap 2
	s_cbranch_execz .LBB1_2
	s_branch .LBB1_13
	.section	.rodata,"a",@progbits
	.p2align	6, 0x0
	.amdhsa_kernel _ZL19compute_cuda_kernelIlEvPKT_PKlPS0_ll
		.amdhsa_group_segment_fixed_size 0
		.amdhsa_private_segment_fixed_size 0
		.amdhsa_kernarg_size 296
		.amdhsa_user_sgpr_count 2
		.amdhsa_user_sgpr_dispatch_ptr 0
		.amdhsa_user_sgpr_queue_ptr 0
		.amdhsa_user_sgpr_kernarg_segment_ptr 1
		.amdhsa_user_sgpr_dispatch_id 0
		.amdhsa_user_sgpr_kernarg_preload_length 0
		.amdhsa_user_sgpr_kernarg_preload_offset 0
		.amdhsa_user_sgpr_private_segment_size 0
		.amdhsa_wavefront_size32 1
		.amdhsa_uses_dynamic_stack 0
		.amdhsa_enable_private_segment 0
		.amdhsa_system_sgpr_workgroup_id_x 1
		.amdhsa_system_sgpr_workgroup_id_y 0
		.amdhsa_system_sgpr_workgroup_id_z 0
		.amdhsa_system_sgpr_workgroup_info 0
		.amdhsa_system_vgpr_workitem_id 0
		.amdhsa_next_free_vgpr 10
		.amdhsa_next_free_sgpr 19
		.amdhsa_named_barrier_count 0
		.amdhsa_reserve_vcc 1
		.amdhsa_float_round_mode_32 0
		.amdhsa_float_round_mode_16_64 0
		.amdhsa_float_denorm_mode_32 3
		.amdhsa_float_denorm_mode_16_64 3
		.amdhsa_fp16_overflow 0
		.amdhsa_memory_ordered 1
		.amdhsa_forward_progress 1
		.amdhsa_inst_pref_size 5
		.amdhsa_round_robin_scheduling 0
		.amdhsa_exception_fp_ieee_invalid_op 0
		.amdhsa_exception_fp_denorm_src 0
		.amdhsa_exception_fp_ieee_div_zero 0
		.amdhsa_exception_fp_ieee_overflow 0
		.amdhsa_exception_fp_ieee_underflow 0
		.amdhsa_exception_fp_ieee_inexact 0
		.amdhsa_exception_int_div_zero 0
	.end_amdhsa_kernel
	.section	.text._ZL19compute_cuda_kernelIlEvPKT_PKlPS0_ll,"axG",@progbits,_ZL19compute_cuda_kernelIlEvPKT_PKlPS0_ll,comdat
.Lfunc_end1:
	.size	_ZL19compute_cuda_kernelIlEvPKT_PKlPS0_ll, .Lfunc_end1-_ZL19compute_cuda_kernelIlEvPKT_PKlPS0_ll
                                        ; -- End function
	.set _ZL19compute_cuda_kernelIlEvPKT_PKlPS0_ll.num_vgpr, 10
	.set _ZL19compute_cuda_kernelIlEvPKT_PKlPS0_ll.num_agpr, 0
	.set _ZL19compute_cuda_kernelIlEvPKT_PKlPS0_ll.numbered_sgpr, 19
	.set _ZL19compute_cuda_kernelIlEvPKT_PKlPS0_ll.num_named_barrier, 0
	.set _ZL19compute_cuda_kernelIlEvPKT_PKlPS0_ll.private_seg_size, 0
	.set _ZL19compute_cuda_kernelIlEvPKT_PKlPS0_ll.uses_vcc, 1
	.set _ZL19compute_cuda_kernelIlEvPKT_PKlPS0_ll.uses_flat_scratch, 0
	.set _ZL19compute_cuda_kernelIlEvPKT_PKlPS0_ll.has_dyn_sized_stack, 0
	.set _ZL19compute_cuda_kernelIlEvPKT_PKlPS0_ll.has_recursion, 0
	.set _ZL19compute_cuda_kernelIlEvPKT_PKlPS0_ll.has_indirect_call, 0
	.section	.AMDGPU.csdata,"",@progbits
; Kernel info:
; codeLenInByte = 532
; TotalNumSgprs: 21
; NumVgprs: 10
; ScratchSize: 0
; MemoryBound: 0
; FloatMode: 240
; IeeeMode: 1
; LDSByteSize: 0 bytes/workgroup (compile time only)
; SGPRBlocks: 0
; VGPRBlocks: 0
; NumSGPRsForWavesPerEU: 21
; NumVGPRsForWavesPerEU: 10
; NamedBarCnt: 0
; Occupancy: 16
; WaveLimiterHint : 0
; COMPUTE_PGM_RSRC2:SCRATCH_EN: 0
; COMPUTE_PGM_RSRC2:USER_SGPR: 2
; COMPUTE_PGM_RSRC2:TRAP_HANDLER: 0
; COMPUTE_PGM_RSRC2:TGID_X_EN: 1
; COMPUTE_PGM_RSRC2:TGID_Y_EN: 0
; COMPUTE_PGM_RSRC2:TGID_Z_EN: 0
; COMPUTE_PGM_RSRC2:TIDIG_COMP_CNT: 0
	.section	.AMDGPU.gpr_maximums,"",@progbits
	.set amdgpu.max_num_vgpr, 0
	.set amdgpu.max_num_agpr, 0
	.set amdgpu.max_num_sgpr, 0
	.section	.AMDGPU.csdata,"",@progbits
	.type	__hip_cuid_10ff59642809cb08,@object ; @__hip_cuid_10ff59642809cb08
	.section	.bss,"aw",@nobits
	.globl	__hip_cuid_10ff59642809cb08
__hip_cuid_10ff59642809cb08:
	.byte	0                               ; 0x0
	.size	__hip_cuid_10ff59642809cb08, 1

	.ident	"AMD clang version 22.0.0git (https://github.com/RadeonOpenCompute/llvm-project roc-7.2.4 26084 f58b06dce1f9c15707c5f808fd002e18c2accf7e)"
	.section	".note.GNU-stack","",@progbits
	.addrsig
	.addrsig_sym __hip_cuid_10ff59642809cb08
	.amdgpu_metadata
---
amdhsa.kernels:
  - .args:
      - .address_space:  global
        .offset:         0
        .size:           8
        .value_kind:     global_buffer
      - .address_space:  global
        .offset:         8
        .size:           8
        .value_kind:     global_buffer
      - .address_space:  global
        .offset:         16
        .size:           8
        .value_kind:     global_buffer
      - .offset:         24
        .size:           8
        .value_kind:     by_value
      - .offset:         32
        .size:           8
        .value_kind:     by_value
      - .offset:         40
        .size:           4
        .value_kind:     hidden_block_count_x
      - .offset:         44
        .size:           4
        .value_kind:     hidden_block_count_y
      - .offset:         48
        .size:           4
        .value_kind:     hidden_block_count_z
      - .offset:         52
        .size:           2
        .value_kind:     hidden_group_size_x
      - .offset:         54
        .size:           2
        .value_kind:     hidden_group_size_y
      - .offset:         56
        .size:           2
        .value_kind:     hidden_group_size_z
      - .offset:         58
        .size:           2
        .value_kind:     hidden_remainder_x
      - .offset:         60
        .size:           2
        .value_kind:     hidden_remainder_y
      - .offset:         62
        .size:           2
        .value_kind:     hidden_remainder_z
      - .offset:         80
        .size:           8
        .value_kind:     hidden_global_offset_x
      - .offset:         88
        .size:           8
        .value_kind:     hidden_global_offset_y
      - .offset:         96
        .size:           8
        .value_kind:     hidden_global_offset_z
      - .offset:         104
        .size:           2
        .value_kind:     hidden_grid_dims
    .group_segment_fixed_size: 0
    .kernarg_segment_align: 8
    .kernarg_segment_size: 296
    .language:       OpenCL C
    .language_version:
      - 2
      - 0
    .max_flat_workgroup_size: 1024
    .name:           _ZL19compute_cuda_kernelIiEvPKT_PKlPS0_ll
    .private_segment_fixed_size: 0
    .sgpr_count:     21
    .sgpr_spill_count: 0
    .symbol:         _ZL19compute_cuda_kernelIiEvPKT_PKlPS0_ll.kd
    .uniform_work_group_size: 1
    .uses_dynamic_stack: false
    .vgpr_count:     12
    .vgpr_spill_count: 0
    .wavefront_size: 32
  - .args:
      - .address_space:  global
        .offset:         0
        .size:           8
        .value_kind:     global_buffer
      - .address_space:  global
        .offset:         8
        .size:           8
        .value_kind:     global_buffer
      - .address_space:  global
        .offset:         16
        .size:           8
        .value_kind:     global_buffer
      - .offset:         24
        .size:           8
        .value_kind:     by_value
      - .offset:         32
        .size:           8
        .value_kind:     by_value
      - .offset:         40
        .size:           4
        .value_kind:     hidden_block_count_x
      - .offset:         44
        .size:           4
        .value_kind:     hidden_block_count_y
      - .offset:         48
        .size:           4
        .value_kind:     hidden_block_count_z
      - .offset:         52
        .size:           2
        .value_kind:     hidden_group_size_x
      - .offset:         54
        .size:           2
        .value_kind:     hidden_group_size_y
      - .offset:         56
        .size:           2
        .value_kind:     hidden_group_size_z
      - .offset:         58
        .size:           2
        .value_kind:     hidden_remainder_x
      - .offset:         60
        .size:           2
        .value_kind:     hidden_remainder_y
      - .offset:         62
        .size:           2
        .value_kind:     hidden_remainder_z
      - .offset:         80
        .size:           8
        .value_kind:     hidden_global_offset_x
      - .offset:         88
        .size:           8
        .value_kind:     hidden_global_offset_y
      - .offset:         96
        .size:           8
        .value_kind:     hidden_global_offset_z
      - .offset:         104
        .size:           2
        .value_kind:     hidden_grid_dims
    .group_segment_fixed_size: 0
    .kernarg_segment_align: 8
    .kernarg_segment_size: 296
    .language:       OpenCL C
    .language_version:
      - 2
      - 0
    .max_flat_workgroup_size: 1024
    .name:           _ZL19compute_cuda_kernelIlEvPKT_PKlPS0_ll
    .private_segment_fixed_size: 0
    .sgpr_count:     21
    .sgpr_spill_count: 0
    .symbol:         _ZL19compute_cuda_kernelIlEvPKT_PKlPS0_ll.kd
    .uniform_work_group_size: 1
    .uses_dynamic_stack: false
    .vgpr_count:     10
    .vgpr_spill_count: 0
    .wavefront_size: 32
amdhsa.target:   amdgcn-amd-amdhsa--gfx1250
amdhsa.version:
  - 1
  - 2
...

	.end_amdgpu_metadata
